;; amdgpu-corpus repo=ROCm/AMDMIGraphX kind=compiled arch=gfx1030 opt=O3
	.text
	.amdgcn_target "amdgcn-amd-amdhsa--gfx1030"
	.amdhsa_code_object_version 6
	.protected	nonzero_f32             ; -- Begin function nonzero_f32
	.globl	nonzero_f32
	.p2align	8
	.type	nonzero_f32,@function
nonzero_f32:                            ; @nonzero_f32
; %bb.0:
	s_load_dwordx4 s[8:11], s[4:5], 0x0
	s_mov_b32 s0, exec_lo
	v_cmpx_gt_u32_e32 64, v0
	s_cbranch_execz .LBB0_2
; %bb.1:
	v_mov_b32_e32 v1, 0
	v_lshlrev_b32_e32 v3, 3, v0
	v_mov_b32_e32 v2, v1
	s_waitcnt lgkmcnt(0)
	global_store_dwordx2 v3, v[1:2], s[10:11]
.LBB0_2:
	s_or_b32 exec_lo, exec_lo, s0
	v_cmp_lt_u32_e64 s0, 31, v0
	v_cmp_gt_u32_e32 vcc_lo, 32, v0
	v_mov_b32_e32 v2, 0
	v_lshlrev_b32_e32 v1, 2, v0
	s_and_saveexec_b32 s2, vcc_lo
	s_cbranch_execz .LBB0_4
; %bb.3:
	s_waitcnt lgkmcnt(0)
	global_load_dword v2, v1, s[8:9]
	s_waitcnt vmcnt(0)
	v_cmp_lg_f32_e64 s1, 0, v2
	v_cndmask_b32_e64 v2, 0, 1, s1
.LBB0_4:
	s_or_b32 exec_lo, exec_lo, s2
	v_mbcnt_lo_u32_b32 v7, -1, 0
	v_and_b32_e32 v11, 31, v0
	s_mov_b32 s7, exec_lo
	v_add_nc_u32_e32 v3, -1, v7
	v_add_nc_u32_e32 v5, -2, v7
	;; [unrolled: 1-line block ×3, first 2 shown]
	v_cmp_lt_u32_e64 s4, 3, v11
	v_cmp_lt_u32_e64 s5, 15, v11
	v_cmp_gt_i32_e64 s1, 0, v3
	v_cmp_gt_i32_e64 s2, 0, v8
	v_cndmask_b32_e64 v3, v3, v7, s1
	v_cmp_gt_i32_e64 s1, 0, v5
	v_cndmask_b32_e64 v8, v8, v7, s2
	v_cmp_gt_u32_e64 s2, 2, v11
	v_lshlrev_b32_e32 v3, 2, v3
	v_cndmask_b32_e64 v5, v5, v7, s1
	v_cmp_eq_u32_e64 s1, 0, v11
	ds_bpermute_b32 v4, v3, v2
	s_waitcnt lgkmcnt(0)
	v_cndmask_b32_e64 v6, v4, 0, s1
	v_lshlrev_b32_e32 v4, 2, v5
	v_add_nc_u32_e32 v5, v6, v2
	ds_bpermute_b32 v6, v4, v5
	s_waitcnt lgkmcnt(0)
	v_cndmask_b32_e64 v9, v6, 0, s2
	v_lshlrev_b32_e32 v6, 2, v8
	v_add_nc_u32_e32 v5, v5, v9
	v_add_nc_u32_e32 v9, -8, v7
	ds_bpermute_b32 v8, v6, v5
	v_cmp_gt_i32_e64 s3, 0, v9
	v_cndmask_b32_e64 v9, v9, v7, s3
	s_waitcnt lgkmcnt(0)
	v_cndmask_b32_e64 v10, 0, v8, s4
	v_lshlrev_b32_e32 v8, 2, v9
	v_add_nc_u32_e32 v5, v5, v10
	v_add_nc_u32_e32 v10, -16, v7
	ds_bpermute_b32 v9, v8, v5
	v_cmp_gt_i32_e64 s3, 0, v10
	v_cndmask_b32_e64 v7, v10, v7, s3
	v_cmp_lt_u32_e64 s3, 7, v11
	v_lshlrev_b32_e32 v10, 2, v7
	s_waitcnt lgkmcnt(0)
	v_cndmask_b32_e64 v9, 0, v9, s3
	v_add_nc_u32_e32 v9, v5, v9
	ds_bpermute_b32 v7, v10, v9
	s_waitcnt lgkmcnt(0)
	v_cndmask_b32_e64 v12, 0, v7, s5
	v_lshrrev_b32_e32 v7, 5, v0
	v_add_nc_u32_e32 v9, v9, v12
	v_cmpx_eq_u32_e32 31, v11
	s_cbranch_execz .LBB0_6
; %bb.5:
	v_lshlrev_b32_e32 v11, 2, v7
	ds_write_b32 v11, v9
.LBB0_6:
	s_or_b32 exec_lo, exec_lo, s7
	s_mov_b32 s7, exec_lo
	s_waitcnt lgkmcnt(0)
	s_waitcnt_vscnt null, 0x0
	s_barrier
	buffer_gl0_inv
	v_cmpx_gt_u32_e32 8, v0
	s_cbranch_execz .LBB0_8
; %bb.7:
	ds_read_b32 v11, v1
	s_waitcnt lgkmcnt(0)
	ds_bpermute_b32 v3, v3, v11
	s_waitcnt lgkmcnt(0)
	v_cndmask_b32_e64 v3, v3, 0, s1
	v_add_nc_u32_e32 v3, v3, v11
	ds_bpermute_b32 v4, v4, v3
	s_waitcnt lgkmcnt(0)
	v_cndmask_b32_e64 v4, v4, 0, s2
	v_add_nc_u32_e32 v3, v3, v4
	;; [unrolled: 4-line block ×5, first 2 shown]
	v_cndmask_b32_e64 v3, v3, v4, s3
	v_cndmask_b32_e64 v3, v3, v11, s1
	ds_write_b32 v1, v3
.LBB0_8:
	s_or_b32 exec_lo, exec_lo, s7
	v_cndmask_b32_e64 v3, v5, v9, s3
	s_waitcnt lgkmcnt(0)
	s_barrier
	buffer_gl0_inv
	v_cndmask_b32_e64 v2, v3, v2, s1
	s_and_saveexec_b32 s1, s0
	s_cbranch_execz .LBB0_10
; %bb.9:
	v_lshl_add_u32 v3, v7, 2, -4
	ds_read_b32 v3, v3
	s_waitcnt lgkmcnt(0)
	v_add_nc_u32_e32 v2, v3, v2
.LBB0_10:
	s_or_b32 exec_lo, exec_lo, s1
	s_and_saveexec_b32 s0, vcc_lo
	s_cbranch_execz .LBB0_13
; %bb.11:
	global_load_dword v1, v1, s[8:9]
	s_waitcnt vmcnt(0)
	v_cmp_lg_f32_e32 vcc_lo, 0, v1
	s_and_b32 exec_lo, exec_lo, vcc_lo
	s_cbranch_execz .LBB0_13
; %bb.12:
	v_mov_b32_e32 v3, 0
	v_add_nc_u32_e32 v4, -1, v2
	v_add_nc_u32_e32 v2, 31, v2
	v_lshrrev_b32_e32 v6, 3, v0
	v_mov_b32_e32 v5, v3
	v_mov_b32_e32 v7, v3
	v_lshlrev_b64 v[8:9], 3, v[2:3]
	v_and_b32_e32 v2, 7, v0
	v_lshlrev_b64 v[4:5], 3, v[4:5]
	v_add_co_u32 v0, vcc_lo, s10, v4
	v_add_co_ci_u32_e32 v1, vcc_lo, s11, v5, vcc_lo
	v_add_co_u32 v4, vcc_lo, s10, v8
	v_add_co_ci_u32_e32 v5, vcc_lo, s11, v9, vcc_lo
	global_store_dwordx2 v[0:1], v[6:7], off
	global_store_dwordx2 v[4:5], v[2:3], off
.LBB0_13:
	s_endpgm
	.section	.rodata,"a",@progbits
	.p2align	6, 0x0
	.amdhsa_kernel nonzero_f32
		.amdhsa_group_segment_fixed_size 32
		.amdhsa_private_segment_fixed_size 0
		.amdhsa_kernarg_size 16
		.amdhsa_user_sgpr_count 6
		.amdhsa_user_sgpr_private_segment_buffer 1
		.amdhsa_user_sgpr_dispatch_ptr 0
		.amdhsa_user_sgpr_queue_ptr 0
		.amdhsa_user_sgpr_kernarg_segment_ptr 1
		.amdhsa_user_sgpr_dispatch_id 0
		.amdhsa_user_sgpr_flat_scratch_init 0
		.amdhsa_user_sgpr_private_segment_size 0
		.amdhsa_wavefront_size32 1
		.amdhsa_uses_dynamic_stack 0
		.amdhsa_system_sgpr_private_segment_wavefront_offset 0
		.amdhsa_system_sgpr_workgroup_id_x 1
		.amdhsa_system_sgpr_workgroup_id_y 0
		.amdhsa_system_sgpr_workgroup_id_z 0
		.amdhsa_system_sgpr_workgroup_info 0
		.amdhsa_system_vgpr_workitem_id 0
		.amdhsa_next_free_vgpr 13
		.amdhsa_next_free_sgpr 12
		.amdhsa_reserve_vcc 1
		.amdhsa_reserve_flat_scratch 0
		.amdhsa_float_round_mode_32 0
		.amdhsa_float_round_mode_16_64 0
		.amdhsa_float_denorm_mode_32 3
		.amdhsa_float_denorm_mode_16_64 3
		.amdhsa_dx10_clamp 1
		.amdhsa_ieee_mode 1
		.amdhsa_fp16_overflow 0
		.amdhsa_workgroup_processor_mode 1
		.amdhsa_memory_ordered 1
		.amdhsa_forward_progress 0
		.amdhsa_shared_vgpr_count 0
		.amdhsa_exception_fp_ieee_invalid_op 0
		.amdhsa_exception_fp_denorm_src 0
		.amdhsa_exception_fp_ieee_div_zero 0
		.amdhsa_exception_fp_ieee_overflow 0
		.amdhsa_exception_fp_ieee_underflow 0
		.amdhsa_exception_fp_ieee_inexact 0
		.amdhsa_exception_int_div_zero 0
	.end_amdhsa_kernel
	.text
.Lfunc_end0:
	.size	nonzero_f32, .Lfunc_end0-nonzero_f32
                                        ; -- End function
	.section	.AMDGPU.csdata,"",@progbits
; Kernel info:
; codeLenInByte = 816
; NumSgprs: 14
; NumVgprs: 13
; ScratchSize: 0
; MemoryBound: 0
; FloatMode: 240
; IeeeMode: 1
; LDSByteSize: 32 bytes/workgroup (compile time only)
; SGPRBlocks: 1
; VGPRBlocks: 1
; NumSGPRsForWavesPerEU: 14
; NumVGPRsForWavesPerEU: 13
; Occupancy: 16
; WaveLimiterHint : 0
; COMPUTE_PGM_RSRC2:SCRATCH_EN: 0
; COMPUTE_PGM_RSRC2:USER_SGPR: 6
; COMPUTE_PGM_RSRC2:TRAP_HANDLER: 0
; COMPUTE_PGM_RSRC2:TGID_X_EN: 1
; COMPUTE_PGM_RSRC2:TGID_Y_EN: 0
; COMPUTE_PGM_RSRC2:TGID_Z_EN: 0
; COMPUTE_PGM_RSRC2:TIDIG_COMP_CNT: 0
	.text
	.p2alignl 6, 3214868480
	.fill 48, 4, 3214868480
	.type	__hip_cuid_9ddacc3e93ff9f84,@object ; @__hip_cuid_9ddacc3e93ff9f84
	.section	.bss,"aw",@nobits
	.globl	__hip_cuid_9ddacc3e93ff9f84
__hip_cuid_9ddacc3e93ff9f84:
	.byte	0                               ; 0x0
	.size	__hip_cuid_9ddacc3e93ff9f84, 1

	.ident	"AMD clang version 19.0.0git (https://github.com/RadeonOpenCompute/llvm-project roc-6.4.0 25133 c7fe45cf4b819c5991fe208aaa96edf142730f1d)"
	.section	".note.GNU-stack","",@progbits
	.addrsig
	.addrsig_sym __hip_cuid_9ddacc3e93ff9f84
	.amdgpu_metadata
---
amdhsa.kernels:
  - .args:
      - .address_space:  global
        .offset:         0
        .size:           8
        .value_kind:     global_buffer
      - .address_space:  global
        .offset:         8
        .size:           8
        .value_kind:     global_buffer
    .group_segment_fixed_size: 32
    .kernarg_segment_align: 8
    .kernarg_segment_size: 16
    .language:       OpenCL C
    .language_version:
      - 2
      - 0
    .max_flat_workgroup_size: 1024
    .name:           nonzero_f32
    .private_segment_fixed_size: 0
    .sgpr_count:     14
    .sgpr_spill_count: 0
    .symbol:         nonzero_f32.kd
    .uniform_work_group_size: 1
    .uses_dynamic_stack: false
    .vgpr_count:     13
    .vgpr_spill_count: 0
    .wavefront_size: 32
    .workgroup_processor_mode: 1
amdhsa.target:   amdgcn-amd-amdhsa--gfx1030
amdhsa.version:
  - 1
  - 2
...

	.end_amdgpu_metadata
